;; amdgpu-corpus repo=ROCm/rocFFT kind=compiled arch=gfx1201 opt=O3
	.text
	.amdgcn_target "amdgcn-amd-amdhsa--gfx1201"
	.amdhsa_code_object_version 6
	.protected	fft_rtc_fwd_len352_factors_11_2_16_wgs_64_tpt_32_half_op_CI_CI_unitstride_sbrr_C2R_dirReg ; -- Begin function fft_rtc_fwd_len352_factors_11_2_16_wgs_64_tpt_32_half_op_CI_CI_unitstride_sbrr_C2R_dirReg
	.globl	fft_rtc_fwd_len352_factors_11_2_16_wgs_64_tpt_32_half_op_CI_CI_unitstride_sbrr_C2R_dirReg
	.p2align	8
	.type	fft_rtc_fwd_len352_factors_11_2_16_wgs_64_tpt_32_half_op_CI_CI_unitstride_sbrr_C2R_dirReg,@function
fft_rtc_fwd_len352_factors_11_2_16_wgs_64_tpt_32_half_op_CI_CI_unitstride_sbrr_C2R_dirReg: ; @fft_rtc_fwd_len352_factors_11_2_16_wgs_64_tpt_32_half_op_CI_CI_unitstride_sbrr_C2R_dirReg
; %bb.0:
	s_clause 0x2
	s_load_b128 s[8:11], s[0:1], 0x0
	s_load_b128 s[4:7], s[0:1], 0x58
	;; [unrolled: 1-line block ×3, first 2 shown]
	v_lshrrev_b32_e32 v1, 5, v0
	v_mov_b32_e32 v3, 0
	v_mov_b32_e32 v7, 0
	;; [unrolled: 1-line block ×3, first 2 shown]
	s_delay_alu instid0(VALU_DEP_4) | instskip(NEXT) | instid1(VALU_DEP_4)
	v_lshl_or_b32 v9, ttmp9, 1, v1
	v_mov_b32_e32 v10, v3
	s_wait_kmcnt 0x0
	v_cmp_lt_u64_e64 s2, s[10:11], 2
	s_delay_alu instid0(VALU_DEP_1)
	s_and_b32 vcc_lo, exec_lo, s2
	s_cbranch_vccnz .LBB0_8
; %bb.1:
	s_load_b64 s[2:3], s[0:1], 0x10
	v_mov_b32_e32 v7, 0
	v_mov_b32_e32 v8, 0
	s_delay_alu instid0(VALU_DEP_2)
	v_mov_b32_e32 v1, v7
	s_add_nc_u64 s[16:17], s[14:15], 8
	s_add_nc_u64 s[18:19], s[12:13], 8
	s_mov_b64 s[20:21], 1
	v_mov_b32_e32 v2, v8
	s_wait_kmcnt 0x0
	s_add_nc_u64 s[22:23], s[2:3], 8
	s_mov_b32 s3, 0
.LBB0_2:                                ; =>This Inner Loop Header: Depth=1
	s_load_b64 s[24:25], s[22:23], 0x0
                                        ; implicit-def: $vgpr5_vgpr6
	s_mov_b32 s2, exec_lo
	s_wait_kmcnt 0x0
	v_or_b32_e32 v4, s25, v10
	s_delay_alu instid0(VALU_DEP_1)
	v_cmpx_ne_u64_e32 0, v[3:4]
	s_wait_alu 0xfffe
	s_xor_b32 s26, exec_lo, s2
	s_cbranch_execz .LBB0_4
; %bb.3:                                ;   in Loop: Header=BB0_2 Depth=1
	s_cvt_f32_u32 s2, s24
	s_cvt_f32_u32 s27, s25
	s_sub_nc_u64 s[30:31], 0, s[24:25]
	s_wait_alu 0xfffe
	s_delay_alu instid0(SALU_CYCLE_1) | instskip(SKIP_1) | instid1(SALU_CYCLE_2)
	s_fmamk_f32 s2, s27, 0x4f800000, s2
	s_wait_alu 0xfffe
	v_s_rcp_f32 s2, s2
	s_delay_alu instid0(TRANS32_DEP_1) | instskip(SKIP_1) | instid1(SALU_CYCLE_2)
	s_mul_f32 s2, s2, 0x5f7ffffc
	s_wait_alu 0xfffe
	s_mul_f32 s27, s2, 0x2f800000
	s_wait_alu 0xfffe
	s_delay_alu instid0(SALU_CYCLE_2) | instskip(SKIP_1) | instid1(SALU_CYCLE_2)
	s_trunc_f32 s27, s27
	s_wait_alu 0xfffe
	s_fmamk_f32 s2, s27, 0xcf800000, s2
	s_cvt_u32_f32 s29, s27
	s_wait_alu 0xfffe
	s_delay_alu instid0(SALU_CYCLE_1) | instskip(SKIP_1) | instid1(SALU_CYCLE_2)
	s_cvt_u32_f32 s28, s2
	s_wait_alu 0xfffe
	s_mul_u64 s[34:35], s[30:31], s[28:29]
	s_wait_alu 0xfffe
	s_mul_hi_u32 s37, s28, s35
	s_mul_i32 s36, s28, s35
	s_mul_hi_u32 s2, s28, s34
	s_mul_i32 s33, s29, s34
	s_wait_alu 0xfffe
	s_add_nc_u64 s[36:37], s[2:3], s[36:37]
	s_mul_hi_u32 s27, s29, s34
	s_mul_hi_u32 s38, s29, s35
	s_add_co_u32 s2, s36, s33
	s_wait_alu 0xfffe
	s_add_co_ci_u32 s2, s37, s27
	s_mul_i32 s34, s29, s35
	s_add_co_ci_u32 s35, s38, 0
	s_wait_alu 0xfffe
	s_add_nc_u64 s[34:35], s[2:3], s[34:35]
	s_wait_alu 0xfffe
	v_add_co_u32 v4, s2, s28, s34
	s_delay_alu instid0(VALU_DEP_1) | instskip(SKIP_1) | instid1(VALU_DEP_1)
	s_cmp_lg_u32 s2, 0
	s_add_co_ci_u32 s29, s29, s35
	v_readfirstlane_b32 s28, v4
	s_wait_alu 0xfffe
	s_delay_alu instid0(VALU_DEP_1)
	s_mul_u64 s[30:31], s[30:31], s[28:29]
	s_wait_alu 0xfffe
	s_mul_hi_u32 s35, s28, s31
	s_mul_i32 s34, s28, s31
	s_mul_hi_u32 s2, s28, s30
	s_mul_i32 s33, s29, s30
	s_wait_alu 0xfffe
	s_add_nc_u64 s[34:35], s[2:3], s[34:35]
	s_mul_hi_u32 s27, s29, s30
	s_mul_hi_u32 s28, s29, s31
	s_wait_alu 0xfffe
	s_add_co_u32 s2, s34, s33
	s_add_co_ci_u32 s2, s35, s27
	s_mul_i32 s30, s29, s31
	s_add_co_ci_u32 s31, s28, 0
	s_wait_alu 0xfffe
	s_add_nc_u64 s[30:31], s[2:3], s[30:31]
	s_wait_alu 0xfffe
	v_add_co_u32 v6, s2, v4, s30
	s_delay_alu instid0(VALU_DEP_1) | instskip(SKIP_1) | instid1(VALU_DEP_1)
	s_cmp_lg_u32 s2, 0
	s_add_co_ci_u32 s2, s29, s31
	v_mul_hi_u32 v15, v9, v6
	s_wait_alu 0xfffe
	v_mad_co_u64_u32 v[4:5], null, v9, s2, 0
	v_mad_co_u64_u32 v[11:12], null, v10, v6, 0
	;; [unrolled: 1-line block ×3, first 2 shown]
	s_delay_alu instid0(VALU_DEP_3) | instskip(SKIP_1) | instid1(VALU_DEP_4)
	v_add_co_u32 v4, vcc_lo, v15, v4
	s_wait_alu 0xfffd
	v_add_co_ci_u32_e32 v5, vcc_lo, 0, v5, vcc_lo
	s_delay_alu instid0(VALU_DEP_2) | instskip(SKIP_1) | instid1(VALU_DEP_2)
	v_add_co_u32 v4, vcc_lo, v4, v11
	s_wait_alu 0xfffd
	v_add_co_ci_u32_e32 v4, vcc_lo, v5, v12, vcc_lo
	s_wait_alu 0xfffd
	v_add_co_ci_u32_e32 v5, vcc_lo, 0, v14, vcc_lo
	s_delay_alu instid0(VALU_DEP_2) | instskip(SKIP_1) | instid1(VALU_DEP_2)
	v_add_co_u32 v11, vcc_lo, v4, v13
	s_wait_alu 0xfffd
	v_add_co_ci_u32_e32 v6, vcc_lo, 0, v5, vcc_lo
	s_delay_alu instid0(VALU_DEP_2) | instskip(SKIP_1) | instid1(VALU_DEP_3)
	v_mul_lo_u32 v12, s25, v11
	v_mad_co_u64_u32 v[4:5], null, s24, v11, 0
	v_mul_lo_u32 v13, s24, v6
	s_delay_alu instid0(VALU_DEP_2) | instskip(NEXT) | instid1(VALU_DEP_2)
	v_sub_co_u32 v4, vcc_lo, v9, v4
	v_add3_u32 v5, v5, v13, v12
	s_delay_alu instid0(VALU_DEP_1) | instskip(SKIP_1) | instid1(VALU_DEP_1)
	v_sub_nc_u32_e32 v12, v10, v5
	s_wait_alu 0xfffd
	v_subrev_co_ci_u32_e64 v12, s2, s25, v12, vcc_lo
	v_add_co_u32 v13, s2, v11, 2
	s_wait_alu 0xf1ff
	v_add_co_ci_u32_e64 v14, s2, 0, v6, s2
	v_sub_co_u32 v15, s2, v4, s24
	v_sub_co_ci_u32_e32 v5, vcc_lo, v10, v5, vcc_lo
	s_wait_alu 0xf1ff
	v_subrev_co_ci_u32_e64 v12, s2, 0, v12, s2
	s_delay_alu instid0(VALU_DEP_3) | instskip(NEXT) | instid1(VALU_DEP_3)
	v_cmp_le_u32_e32 vcc_lo, s24, v15
	v_cmp_eq_u32_e64 s2, s25, v5
	s_wait_alu 0xfffd
	v_cndmask_b32_e64 v15, 0, -1, vcc_lo
	v_cmp_le_u32_e32 vcc_lo, s25, v12
	s_wait_alu 0xfffd
	v_cndmask_b32_e64 v16, 0, -1, vcc_lo
	v_cmp_le_u32_e32 vcc_lo, s24, v4
	;; [unrolled: 3-line block ×3, first 2 shown]
	s_wait_alu 0xfffd
	v_cndmask_b32_e64 v17, 0, -1, vcc_lo
	v_cmp_eq_u32_e32 vcc_lo, s25, v12
	s_wait_alu 0xf1ff
	s_delay_alu instid0(VALU_DEP_2)
	v_cndmask_b32_e64 v4, v17, v4, s2
	s_wait_alu 0xfffd
	v_cndmask_b32_e32 v12, v16, v15, vcc_lo
	v_add_co_u32 v15, vcc_lo, v11, 1
	s_wait_alu 0xfffd
	v_add_co_ci_u32_e32 v16, vcc_lo, 0, v6, vcc_lo
	s_delay_alu instid0(VALU_DEP_3) | instskip(SKIP_1) | instid1(VALU_DEP_2)
	v_cmp_ne_u32_e32 vcc_lo, 0, v12
	s_wait_alu 0xfffd
	v_dual_cndmask_b32 v5, v16, v14 :: v_dual_cndmask_b32 v12, v15, v13
	v_cmp_ne_u32_e32 vcc_lo, 0, v4
	s_wait_alu 0xfffd
	s_delay_alu instid0(VALU_DEP_2)
	v_dual_cndmask_b32 v6, v6, v5 :: v_dual_cndmask_b32 v5, v11, v12
.LBB0_4:                                ;   in Loop: Header=BB0_2 Depth=1
	s_wait_alu 0xfffe
	s_and_not1_saveexec_b32 s2, s26
	s_cbranch_execz .LBB0_6
; %bb.5:                                ;   in Loop: Header=BB0_2 Depth=1
	v_cvt_f32_u32_e32 v4, s24
	s_sub_co_i32 s26, 0, s24
	s_delay_alu instid0(VALU_DEP_1) | instskip(NEXT) | instid1(TRANS32_DEP_1)
	v_rcp_iflag_f32_e32 v4, v4
	v_mul_f32_e32 v4, 0x4f7ffffe, v4
	s_delay_alu instid0(VALU_DEP_1) | instskip(SKIP_1) | instid1(VALU_DEP_1)
	v_cvt_u32_f32_e32 v4, v4
	s_wait_alu 0xfffe
	v_mul_lo_u32 v5, s26, v4
	s_delay_alu instid0(VALU_DEP_1) | instskip(NEXT) | instid1(VALU_DEP_1)
	v_mul_hi_u32 v5, v4, v5
	v_add_nc_u32_e32 v4, v4, v5
	s_delay_alu instid0(VALU_DEP_1) | instskip(NEXT) | instid1(VALU_DEP_1)
	v_mul_hi_u32 v4, v9, v4
	v_mul_lo_u32 v5, v4, s24
	v_add_nc_u32_e32 v6, 1, v4
	s_delay_alu instid0(VALU_DEP_2) | instskip(NEXT) | instid1(VALU_DEP_1)
	v_sub_nc_u32_e32 v5, v9, v5
	v_subrev_nc_u32_e32 v11, s24, v5
	v_cmp_le_u32_e32 vcc_lo, s24, v5
	s_wait_alu 0xfffd
	s_delay_alu instid0(VALU_DEP_2) | instskip(NEXT) | instid1(VALU_DEP_1)
	v_dual_cndmask_b32 v5, v5, v11 :: v_dual_cndmask_b32 v4, v4, v6
	v_cmp_le_u32_e32 vcc_lo, s24, v5
	s_delay_alu instid0(VALU_DEP_2) | instskip(SKIP_1) | instid1(VALU_DEP_1)
	v_add_nc_u32_e32 v6, 1, v4
	s_wait_alu 0xfffd
	v_dual_cndmask_b32 v5, v4, v6 :: v_dual_mov_b32 v6, v3
.LBB0_6:                                ;   in Loop: Header=BB0_2 Depth=1
	s_wait_alu 0xfffe
	s_or_b32 exec_lo, exec_lo, s2
	s_delay_alu instid0(VALU_DEP_1) | instskip(NEXT) | instid1(VALU_DEP_2)
	v_mul_lo_u32 v4, v6, s24
	v_mul_lo_u32 v13, v5, s25
	s_load_b64 s[26:27], s[18:19], 0x0
	v_mad_co_u64_u32 v[11:12], null, v5, s24, 0
	s_load_b64 s[24:25], s[16:17], 0x0
	s_add_nc_u64 s[20:21], s[20:21], 1
	s_add_nc_u64 s[16:17], s[16:17], 8
	s_wait_alu 0xfffe
	v_cmp_ge_u64_e64 s2, s[20:21], s[10:11]
	s_add_nc_u64 s[18:19], s[18:19], 8
	s_add_nc_u64 s[22:23], s[22:23], 8
	v_add3_u32 v4, v12, v13, v4
	v_sub_co_u32 v9, vcc_lo, v9, v11
	s_wait_alu 0xfffd
	s_delay_alu instid0(VALU_DEP_2) | instskip(SKIP_2) | instid1(VALU_DEP_1)
	v_sub_co_ci_u32_e32 v4, vcc_lo, v10, v4, vcc_lo
	s_and_b32 vcc_lo, exec_lo, s2
	s_wait_kmcnt 0x0
	v_mul_lo_u32 v10, s26, v4
	v_mul_lo_u32 v11, s27, v9
	v_mad_co_u64_u32 v[7:8], null, s26, v9, v[7:8]
	v_mul_lo_u32 v4, s24, v4
	v_mul_lo_u32 v12, s25, v9
	v_mad_co_u64_u32 v[1:2], null, s24, v9, v[1:2]
	s_delay_alu instid0(VALU_DEP_4) | instskip(NEXT) | instid1(VALU_DEP_2)
	v_add3_u32 v8, v11, v8, v10
	v_add3_u32 v2, v12, v2, v4
	s_wait_alu 0xfffe
	s_cbranch_vccnz .LBB0_9
; %bb.7:                                ;   in Loop: Header=BB0_2 Depth=1
	v_dual_mov_b32 v10, v6 :: v_dual_mov_b32 v9, v5
	s_branch .LBB0_2
.LBB0_8:
	v_dual_mov_b32 v1, v7 :: v_dual_mov_b32 v2, v8
	v_dual_mov_b32 v5, v9 :: v_dual_mov_b32 v6, v10
.LBB0_9:
	s_load_b64 s[2:3], s[0:1], 0x28
	v_and_b32_e32 v3, 32, v0
	s_lshl_b64 s[10:11], s[10:11], 3
	s_delay_alu instid0(VALU_DEP_1)
	v_cmp_ne_u32_e64 s0, 0, v3
	v_and_b32_e32 v3, 31, v0
	s_wait_kmcnt 0x0
	v_cmp_gt_u64_e32 vcc_lo, s[2:3], v[5:6]
	v_cmp_le_u64_e64 s1, s[2:3], v[5:6]
	s_wait_alu 0xfffe
	s_add_nc_u64 s[2:3], s[14:15], s[10:11]
	s_delay_alu instid0(VALU_DEP_1) | instskip(NEXT) | instid1(SALU_CYCLE_1)
	s_and_saveexec_b32 s14, s1
	s_xor_b32 s1, exec_lo, s14
; %bb.10:
	v_and_b32_e32 v3, 31, v0
                                        ; implicit-def: $vgpr7_vgpr8
; %bb.11:
	s_wait_alu 0xfffe
	s_or_saveexec_b32 s1, s1
	s_load_b64 s[2:3], s[2:3], 0x0
	v_cndmask_b32_e64 v0, 0, 0x161, s0
	s_delay_alu instid0(VALU_DEP_1)
	v_lshlrev_b32_e32 v23, 2, v0
	s_xor_b32 exec_lo, exec_lo, s1
	s_cbranch_execz .LBB0_15
; %bb.12:
	s_add_nc_u64 s[10:11], s[12:13], s[10:11]
	v_lshlrev_b64_e32 v[7:8], 2, v[7:8]
	s_load_b64 s[10:11], s[10:11], 0x0
	s_wait_kmcnt 0x0
	v_mul_lo_u32 v4, s11, v5
	v_mul_lo_u32 v11, s10, v6
	v_mad_co_u64_u32 v[9:10], null, s10, v5, 0
	s_delay_alu instid0(VALU_DEP_1) | instskip(SKIP_1) | instid1(VALU_DEP_2)
	v_add3_u32 v10, v10, v11, v4
	v_lshlrev_b32_e32 v11, 2, v3
	v_lshlrev_b64_e32 v[9:10], 2, v[9:10]
	s_delay_alu instid0(VALU_DEP_1) | instskip(SKIP_1) | instid1(VALU_DEP_2)
	v_add_co_u32 v4, s0, s4, v9
	s_wait_alu 0xf1ff
	v_add_co_ci_u32_e64 v9, s0, s5, v10, s0
	s_mov_b32 s4, exec_lo
	s_delay_alu instid0(VALU_DEP_2) | instskip(SKIP_1) | instid1(VALU_DEP_2)
	v_add_co_u32 v7, s0, v4, v7
	s_wait_alu 0xf1ff
	v_add_co_ci_u32_e64 v8, s0, v9, v8, s0
	v_add3_u32 v4, 0, v23, v11
	s_delay_alu instid0(VALU_DEP_3) | instskip(SKIP_1) | instid1(VALU_DEP_3)
	v_add_co_u32 v9, s0, v7, v11
	s_wait_alu 0xf1ff
	v_add_co_ci_u32_e64 v10, s0, 0, v8, s0
	s_clause 0xa
	global_load_b32 v12, v[9:10], off
	global_load_b32 v13, v[9:10], off offset:128
	global_load_b32 v14, v[9:10], off offset:256
	;; [unrolled: 1-line block ×10, first 2 shown]
	v_add_nc_u32_e32 v10, 0x400, v4
	s_wait_loadcnt 0x9
	ds_store_2addr_b32 v4, v12, v13 offset1:32
	s_wait_loadcnt 0x7
	ds_store_2addr_b32 v4, v14, v15 offset0:64 offset1:96
	s_wait_loadcnt 0x5
	ds_store_2addr_b32 v4, v16, v17 offset0:128 offset1:160
	;; [unrolled: 2-line block ×3, first 2 shown]
	s_wait_loadcnt 0x1
	ds_store_2addr_b32 v10, v20, v21 offset1:32
	s_wait_loadcnt 0x0
	ds_store_b32 v4, v9 offset:1280
	v_cmpx_eq_u32_e32 31, v3
	s_cbranch_execz .LBB0_14
; %bb.13:
	global_load_b32 v7, v[7:8], off offset:1408
	v_mov_b32_e32 v3, 31
	s_wait_loadcnt 0x0
	ds_store_b32 v4, v7 offset:1284
.LBB0_14:
	s_wait_alu 0xfffe
	s_or_b32 exec_lo, exec_lo, s4
.LBB0_15:
	s_delay_alu instid0(SALU_CYCLE_1)
	s_or_b32 exec_lo, exec_lo, s1
	v_lshl_add_u32 v0, v0, 2, 0
	v_lshlrev_b32_e32 v9, 2, v3
	global_wb scope:SCOPE_SE
	s_wait_dscnt 0x0
	s_wait_kmcnt 0x0
	s_barrier_signal -1
	s_barrier_wait -1
	global_inv scope:SCOPE_SE
	v_add_nc_u32_e32 v22, v0, v9
	v_sub_nc_u32_e32 v10, v0, v9
	s_mov_b32 s1, exec_lo
                                        ; implicit-def: $vgpr7_vgpr8
	ds_load_u16 v13, v22
	ds_load_u16 v14, v10 offset:1408
	s_wait_dscnt 0x0
	v_add_f16_e32 v12, v14, v13
	v_sub_f16_e32 v11, v13, v14
	v_cmpx_ne_u32_e32 0, v3
	s_wait_alu 0xfffe
	s_xor_b32 s1, exec_lo, s1
	s_cbranch_execz .LBB0_17
; %bb.16:
	v_mov_b32_e32 v4, 0
	v_add_f16_e32 v12, v14, v13
	v_sub_f16_e32 v13, v13, v14
	s_delay_alu instid0(VALU_DEP_3) | instskip(NEXT) | instid1(VALU_DEP_1)
	v_lshlrev_b64_e32 v[7:8], 2, v[3:4]
	v_add_co_u32 v7, s0, s8, v7
	s_wait_alu 0xf1ff
	s_delay_alu instid0(VALU_DEP_2)
	v_add_co_ci_u32_e64 v8, s0, s9, v8, s0
	global_load_b32 v7, v[7:8], off offset:1364
	ds_load_u16 v8, v10 offset:1410
	ds_load_u16 v11, v22 offset:2
	s_wait_dscnt 0x0
	v_add_f16_e32 v14, v8, v11
	v_sub_f16_e32 v8, v11, v8
	s_wait_loadcnt 0x0
	v_lshrrev_b32_e32 v15, 16, v7
	s_delay_alu instid0(VALU_DEP_1) | instskip(NEXT) | instid1(VALU_DEP_3)
	v_fma_f16 v16, -v13, v15, v12
	v_fma_f16 v17, v14, v15, -v8
	v_fma_f16 v11, v14, v15, v8
	v_fma_f16 v12, v13, v15, v12
	s_delay_alu instid0(VALU_DEP_4) | instskip(NEXT) | instid1(VALU_DEP_4)
	v_fmac_f16_e32 v16, v7, v14
	v_fmac_f16_e32 v17, v13, v7
	s_delay_alu instid0(VALU_DEP_4) | instskip(NEXT) | instid1(VALU_DEP_4)
	v_fmac_f16_e32 v11, v13, v7
	v_fma_f16 v12, -v7, v14, v12
	v_dual_mov_b32 v8, v4 :: v_dual_mov_b32 v7, v3
	s_delay_alu instid0(VALU_DEP_4)
	v_pack_b32_f16 v13, v16, v17
	ds_store_b32 v10, v13 offset:1408
.LBB0_17:
	s_wait_alu 0xfffe
	s_and_not1_saveexec_b32 s0, s1
	s_cbranch_execz .LBB0_19
; %bb.18:
	ds_load_b32 v4, v0 offset:704
	v_mov_b32_e32 v7, 0
	v_mov_b32_e32 v8, 0
	s_wait_dscnt 0x0
	v_pk_mul_f16 v4, 0xc0004000, v4
	ds_store_b32 v0, v4 offset:704
.LBB0_19:
	s_wait_alu 0xfffe
	s_or_b32 exec_lo, exec_lo, s0
	v_lshlrev_b64_e32 v[7:8], 2, v[7:8]
	s_add_nc_u64 s[0:1], s[8:9], 0x554
	v_perm_b32 v11, v11, v12, 0x5040100
	s_wait_alu 0xfffe
	s_delay_alu instid0(VALU_DEP_2)
	v_add_co_u32 v7, s0, s0, v7
	s_wait_alu 0xf1ff
	v_add_co_ci_u32_e64 v8, s0, s1, v8, s0
	s_mov_b32 s1, exec_lo
	s_clause 0x3
	global_load_b32 v4, v[7:8], off offset:128
	global_load_b32 v13, v[7:8], off offset:256
	;; [unrolled: 1-line block ×4, first 2 shown]
	ds_store_b32 v22, v11
	ds_load_b32 v11, v22 offset:128
	ds_load_b32 v12, v10 offset:1280
	s_wait_dscnt 0x1
	v_lshrrev_b32_e32 v16, 16, v11
	s_wait_dscnt 0x0
	v_lshrrev_b32_e32 v17, 16, v12
	v_add_f16_e32 v18, v11, v12
	v_sub_f16_e32 v11, v11, v12
	s_delay_alu instid0(VALU_DEP_3) | instskip(SKIP_3) | instid1(VALU_DEP_1)
	v_add_f16_e32 v12, v17, v16
	v_sub_f16_e32 v16, v16, v17
	s_wait_loadcnt 0x3
	v_lshrrev_b32_e32 v19, 16, v4
	v_fma_f16 v17, v11, v19, v18
	s_delay_alu instid0(VALU_DEP_3) | instskip(SKIP_2) | instid1(VALU_DEP_4)
	v_fma_f16 v20, v12, v19, v16
	v_fma_f16 v18, -v11, v19, v18
	v_fma_f16 v16, v12, v19, -v16
	v_fma_f16 v17, -v4, v12, v17
	s_delay_alu instid0(VALU_DEP_4) | instskip(NEXT) | instid1(VALU_DEP_4)
	v_fmac_f16_e32 v20, v11, v4
	v_fmac_f16_e32 v18, v4, v12
	s_delay_alu instid0(VALU_DEP_4) | instskip(NEXT) | instid1(VALU_DEP_3)
	v_fmac_f16_e32 v16, v11, v4
	v_pack_b32_f16 v4, v17, v20
	s_wait_loadcnt 0x2
	v_lshrrev_b32_e32 v17, 16, v13
	s_delay_alu instid0(VALU_DEP_3)
	v_pack_b32_f16 v11, v18, v16
	ds_store_b32 v22, v4 offset:128
	ds_store_b32 v10, v11 offset:1280
	ds_load_b32 v4, v22 offset:256
	ds_load_b32 v11, v10 offset:1152
	s_wait_dscnt 0x1
	v_lshrrev_b32_e32 v12, 16, v4
	s_wait_dscnt 0x0
	v_lshrrev_b32_e32 v16, 16, v11
	v_add_f16_e32 v18, v4, v11
	v_sub_f16_e32 v4, v4, v11
	s_delay_alu instid0(VALU_DEP_3) | instskip(SKIP_1) | instid1(VALU_DEP_3)
	v_add_f16_e32 v11, v16, v12
	v_sub_f16_e32 v12, v12, v16
	v_fma_f16 v16, v4, v17, v18
	v_fma_f16 v18, -v4, v17, v18
	s_delay_alu instid0(VALU_DEP_3) | instskip(SKIP_1) | instid1(VALU_DEP_4)
	v_fma_f16 v19, v11, v17, v12
	v_fma_f16 v12, v11, v17, -v12
	v_fma_f16 v16, -v13, v11, v16
	s_delay_alu instid0(VALU_DEP_4) | instskip(NEXT) | instid1(VALU_DEP_4)
	v_fmac_f16_e32 v18, v13, v11
	v_fmac_f16_e32 v19, v4, v13
	s_delay_alu instid0(VALU_DEP_4) | instskip(NEXT) | instid1(VALU_DEP_2)
	v_fmac_f16_e32 v12, v4, v13
	v_pack_b32_f16 v4, v16, v19
	s_delay_alu instid0(VALU_DEP_2)
	v_pack_b32_f16 v11, v18, v12
	ds_store_b32 v22, v4 offset:256
	ds_store_b32 v10, v11 offset:1152
	ds_load_b32 v4, v22 offset:384
	ds_load_b32 v11, v10 offset:1024
	s_wait_loadcnt 0x1
	v_lshrrev_b32_e32 v16, 16, v14
	s_wait_dscnt 0x1
	v_lshrrev_b32_e32 v12, 16, v4
	s_wait_dscnt 0x0
	v_lshrrev_b32_e32 v13, 16, v11
	v_add_f16_e32 v17, v4, v11
	v_sub_f16_e32 v4, v4, v11
	s_delay_alu instid0(VALU_DEP_3) | instskip(SKIP_1) | instid1(VALU_DEP_3)
	v_add_f16_e32 v11, v13, v12
	v_sub_f16_e32 v12, v12, v13
	v_fma_f16 v13, v4, v16, v17
	v_fma_f16 v17, -v4, v16, v17
	s_delay_alu instid0(VALU_DEP_3) | instskip(SKIP_1) | instid1(VALU_DEP_4)
	v_fma_f16 v18, v11, v16, v12
	v_fma_f16 v12, v11, v16, -v12
	v_fma_f16 v13, -v14, v11, v13
	s_delay_alu instid0(VALU_DEP_4) | instskip(NEXT) | instid1(VALU_DEP_4)
	v_fmac_f16_e32 v17, v14, v11
	v_fmac_f16_e32 v18, v4, v14
	s_delay_alu instid0(VALU_DEP_4) | instskip(SKIP_2) | instid1(VALU_DEP_3)
	v_fmac_f16_e32 v12, v4, v14
	s_wait_loadcnt 0x0
	v_lshrrev_b32_e32 v14, 16, v15
	v_pack_b32_f16 v4, v13, v18
	s_delay_alu instid0(VALU_DEP_3)
	v_pack_b32_f16 v11, v17, v12
	ds_store_b32 v22, v4 offset:384
	ds_store_b32 v10, v11 offset:1024
	ds_load_b32 v4, v22 offset:512
	ds_load_b32 v11, v10 offset:896
	s_wait_dscnt 0x1
	v_lshrrev_b32_e32 v12, 16, v4
	s_wait_dscnt 0x0
	v_lshrrev_b32_e32 v13, 16, v11
	v_add_f16_e32 v16, v4, v11
	v_sub_f16_e32 v4, v4, v11
	s_delay_alu instid0(VALU_DEP_3) | instskip(SKIP_1) | instid1(VALU_DEP_3)
	v_add_f16_e32 v11, v13, v12
	v_sub_f16_e32 v12, v12, v13
	v_fma_f16 v13, v4, v14, v16
	v_fma_f16 v16, -v4, v14, v16
	s_delay_alu instid0(VALU_DEP_3) | instskip(SKIP_1) | instid1(VALU_DEP_4)
	v_fma_f16 v17, v11, v14, v12
	v_fma_f16 v12, v11, v14, -v12
	v_fma_f16 v13, -v15, v11, v13
	s_delay_alu instid0(VALU_DEP_4) | instskip(SKIP_3) | instid1(VALU_DEP_2)
	v_fmac_f16_e32 v16, v15, v11
	v_or_b32_e32 v14, 0xa0, v3
	v_fmac_f16_e32 v17, v4, v15
	v_fmac_f16_e32 v12, v4, v15
	v_pack_b32_f16 v4, v13, v17
	s_delay_alu instid0(VALU_DEP_2)
	v_pack_b32_f16 v11, v16, v12
	ds_store_b32 v22, v4 offset:512
	ds_store_b32 v10, v11 offset:896
	v_cmpx_gt_u32_e32 0xb0, v14
	s_cbranch_execz .LBB0_21
; %bb.20:
	global_load_b32 v4, v[7:8], off offset:640
	ds_load_b32 v7, v22 offset:640
	ds_load_b32 v8, v10 offset:768
	s_wait_dscnt 0x1
	v_lshrrev_b32_e32 v11, 16, v7
	s_wait_dscnt 0x0
	v_lshrrev_b32_e32 v12, 16, v8
	v_add_f16_e32 v13, v7, v8
	v_sub_f16_e32 v7, v7, v8
	s_delay_alu instid0(VALU_DEP_3) | instskip(SKIP_3) | instid1(VALU_DEP_1)
	v_add_f16_e32 v8, v12, v11
	v_sub_f16_e32 v11, v11, v12
	s_wait_loadcnt 0x0
	v_lshrrev_b32_e32 v15, 16, v4
	v_fma_f16 v12, v7, v15, v13
	s_delay_alu instid0(VALU_DEP_3) | instskip(SKIP_2) | instid1(VALU_DEP_4)
	v_fma_f16 v16, v8, v15, v11
	v_fma_f16 v13, -v7, v15, v13
	v_fma_f16 v11, v8, v15, -v11
	v_fma_f16 v12, -v4, v8, v12
	s_delay_alu instid0(VALU_DEP_4) | instskip(NEXT) | instid1(VALU_DEP_4)
	v_fmac_f16_e32 v16, v7, v4
	v_fmac_f16_e32 v13, v4, v8
	s_delay_alu instid0(VALU_DEP_4) | instskip(NEXT) | instid1(VALU_DEP_3)
	v_fmac_f16_e32 v11, v7, v4
	v_pack_b32_f16 v4, v12, v16
	s_delay_alu instid0(VALU_DEP_2)
	v_pack_b32_f16 v7, v13, v11
	ds_store_b32 v22, v4 offset:640
	ds_store_b32 v10, v7 offset:768
.LBB0_21:
	s_wait_alu 0xfffe
	s_or_b32 exec_lo, exec_lo, s1
	v_add3_u32 v4, 0, v9, v23
	global_wb scope:SCOPE_SE
	s_wait_dscnt 0x0
	s_barrier_signal -1
	s_barrier_wait -1
	global_inv scope:SCOPE_SE
	global_wb scope:SCOPE_SE
	s_barrier_signal -1
	s_barrier_wait -1
	global_inv scope:SCOPE_SE
	ds_load_b32 v19, v22
	ds_load_2addr_b32 v[8:9], v4 offset0:32 offset1:64
	v_add_nc_u32_e32 v7, 0x400, v4
	ds_load_2addr_b32 v[10:11], v7 offset0:32 offset1:64
	ds_load_2addr_b32 v[12:13], v4 offset0:96 offset1:128
	v_add_nc_u32_e32 v7, 0x200, v4
	ds_load_2addr_b32 v[15:16], v4 offset0:160 offset1:192
	ds_load_2addr_b32 v[17:18], v7 offset0:96 offset1:128
	v_mad_u32_u24 v20, v3, 40, v4
	global_wb scope:SCOPE_SE
	s_wait_dscnt 0x0
	s_barrier_signal -1
	s_barrier_wait -1
	global_inv scope:SCOPE_SE
	v_lshrrev_b32_e32 v25, 16, v19
	v_pk_add_f16 v21, v19, v8
	v_alignbit_b32 v24, s0, v19, 16
	s_delay_alu instid0(VALU_DEP_2)
	v_pk_add_f16 v21, v21, v9
	v_pk_add_f16 v26, v8, v11 neg_lo:[0,1] neg_hi:[0,1]
	v_pk_add_f16 v27, v11, v8
	v_pk_add_f16 v28, v10, v9
	v_pk_add_f16 v9, v9, v10 neg_lo:[0,1] neg_hi:[0,1]
	v_pk_add_f16 v8, v21, v12
	v_lshrrev_b32_e32 v21, 16, v26
	v_pk_mul_f16 v29, 0x3abb36a6, v27
	v_lshrrev_b32_e32 v30, 16, v27
	v_mul_f16_e32 v31, 0xbb47, v26
	v_pk_add_f16 v8, v8, v13
	v_mul_f16_e32 v34, 0xb853, v21
	v_pk_fma_f16 v35, 0xbb47b853, v26, v29 op_sel:[0,0,1] op_sel_hi:[1,1,0] neg_lo:[0,1,0] neg_hi:[0,1,0]
	v_pk_fma_f16 v29, 0xbb47b853, v26, v29 op_sel:[0,0,1] op_sel_hi:[1,1,0]
	v_mul_f16_e32 v37, 0xbbeb, v21
	v_pk_add_f16 v8, v8, v15
	v_mul_f16_e32 v21, 0xba0c, v21
	v_fma_f16 v40, v27, 0x3abb, -v34
	v_bfi_b32 v41, 0xffff, v29, v35
	v_fma_f16 v42, v27, 0xb08e, -v37
	v_pk_add_f16 v8, v8, v16
	v_fma_f16 v43, v27, 0xb93d, -v21
	v_mul_f16_e32 v32, 0xbbeb, v26
	v_mul_f16_e32 v33, 0xba0c, v26
	v_fmamk_f16 v36, v30, 0x36a6, v31
	v_pk_add_f16 v8, v8, v17
	v_fmac_f16_e32 v34, 0x3abb, v27
	v_add_f16_e32 v40, v19, v40
	v_lshrrev_b32_e32 v46, 16, v28
	v_mul_f16_e32 v47, 0xba0c, v9
	v_pk_add_f16 v8, v8, v18
	v_fma_f16 v31, v30, 0x36a6, -v31
	v_fmamk_f16 v38, v30, 0xb08e, v32
	v_fma_f16 v32, v30, 0xb08e, -v32
	v_fmamk_f16 v39, v30, 0xb93d, v33
	v_pk_add_f16 v8, v8, v10
	v_pk_add_f16 v10, v19, v41 op_sel:[1,0] op_sel_hi:[0,1]
	v_add_f16_e32 v41, v19, v42
	v_add_f16_e32 v42, v19, v43
	v_pk_mul_f16 v43, 0x36a6b93d, v28
	v_pk_add_f16 v11, v8, v11
	v_lshrrev_b32_e32 v8, 16, v9
	v_add_f16_e32 v36, v25, v36
	v_add_f16_e32 v34, v19, v34
	v_fma_f16 v30, v30, 0xb93d, -v33
	v_pk_fma_f16 v33, 0xba0cbb47, v9, v43 op_sel:[0,0,1] op_sel_hi:[1,1,0] neg_lo:[0,1,0] neg_hi:[0,1,0]
	v_mul_f16_e32 v44, 0xbb47, v8
	v_pk_fma_f16 v43, 0xba0cbb47, v9, v43 op_sel:[0,0,1] op_sel_hi:[1,1,0]
	v_alignbit_b32 v29, s0, v29, 16
	v_add_f16_e32 v31, v25, v31
	v_fmac_f16_e32 v37, 0xb08e, v27
	v_fma_f16 v45, v28, 0x36a6, -v44
	v_fmac_f16_e32 v44, 0x36a6, v28
	v_bfi_b32 v48, 0xffff, v43, v33
	v_pk_add_f16 v29, v19, v29
	v_add_f16_e32 v37, v19, v37
	v_add_f16_e32 v40, v45, v40
	v_fmamk_f16 v45, v46, 0xb93d, v47
	v_add_f16_e32 v34, v44, v34
	v_mul_f16_e32 v44, 0x3482, v8
	v_pk_add_f16 v10, v48, v10
	v_mul_f16_e32 v48, 0x3482, v9
	v_add_f16_e32 v36, v45, v36
	v_fma_f16 v45, v46, 0xb93d, -v47
	v_alignbit_b32 v43, s0, v43, 16
	v_fma_f16 v47, v28, 0xbbad, -v44
	v_fmac_f16_e32 v44, 0xbbad, v28
	v_mul_f16_e32 v8, 0x3beb, v8
	v_add_f16_e32 v31, v45, v31
	v_pk_add_f16 v45, v12, v18 neg_lo:[0,1] neg_hi:[0,1]
	v_add_f16_e32 v32, v25, v32
	v_fmac_f16_e32 v21, 0xb93d, v27
	v_pk_add_f16 v29, v43, v29
	v_add_f16_e32 v41, v47, v41
	v_add_f16_e32 v37, v44, v37
	v_fma_f16 v43, v46, 0xbbad, -v48
	v_mul_f16_e32 v44, 0x3beb, v9
	v_pk_add_f16 v12, v18, v12
	v_fma_f16 v18, v28, 0xb08e, -v8
	v_lshrrev_b32_e32 v47, 16, v45
	v_add_f16_e32 v38, v25, v38
	v_add_f16_e32 v39, v25, v39
	;; [unrolled: 1-line block ×3, first 2 shown]
	v_fmamk_f16 v49, v46, 0xbbad, v48
	v_add_f16_e32 v32, v43, v32
	v_fmamk_f16 v43, v46, 0xb08e, v44
	v_pk_mul_f16 v48, 0xb08ebbad, v12
	v_add_f16_e32 v18, v18, v42
	v_fmac_f16_e32 v8, 0xb08e, v28
	v_mul_f16_e32 v42, 0xbbeb, v47
	v_add_f16_e32 v30, v25, v30
	v_add_f16_e32 v38, v49, v38
	;; [unrolled: 1-line block ×3, first 2 shown]
	v_pk_fma_f16 v43, 0x3482bbeb, v45, v48 op_sel:[0,0,1] op_sel_hi:[1,1,0] neg_lo:[0,1,0] neg_hi:[0,1,0]
	v_pk_fma_f16 v48, 0x3482bbeb, v45, v48 op_sel:[0,0,1] op_sel_hi:[1,1,0]
	v_add_f16_e32 v8, v8, v21
	v_fma_f16 v21, v46, 0xb08e, -v44
	v_fma_f16 v44, v12, 0xb08e, -v42
	v_fmac_f16_e32 v42, 0xb08e, v12
	v_lshrrev_b32_e32 v49, 16, v12
	v_mul_f16_e32 v50, 0x3482, v45
	v_bfi_b32 v46, 0xffff, v48, v43
	v_add_f16_e32 v21, v21, v30
	v_add_f16_e32 v30, v44, v40
	;; [unrolled: 1-line block ×3, first 2 shown]
	v_fmamk_f16 v40, v49, 0xbbad, v50
	v_mul_f16_e32 v42, 0x3b47, v47
	v_pk_add_f16 v10, v46, v10
	v_alignbit_b32 v44, s0, v48, 16
	v_mul_f16_e32 v46, 0x3b47, v45
	v_add_f16_e32 v36, v40, v36
	v_fma_f16 v40, v12, 0x36a6, -v42
	v_mul_f16_e32 v47, 0xb853, v47
	v_pk_add_f16 v29, v44, v29
	v_fmamk_f16 v44, v49, 0x36a6, v46
	v_fmac_f16_e32 v42, 0x36a6, v12
	v_add_f16_e32 v40, v40, v41
	v_fma_f16 v41, v49, 0x36a6, -v46
	v_pk_add_f16 v46, v13, v17 neg_lo:[0,1] neg_hi:[0,1]
	v_fma_f16 v48, v49, 0xbbad, -v50
	v_add_f16_e32 v38, v44, v38
	v_fma_f16 v44, v12, 0x3abb, -v47
	v_add_f16_e32 v37, v42, v37
	v_mul_f16_e32 v42, 0xb853, v45
	v_add_f16_e32 v32, v41, v32
	v_lshrrev_b32_e32 v41, 16, v46
	v_pk_add_f16 v13, v17, v13
	v_add_f16_e32 v31, v48, v31
	v_add_f16_e32 v18, v44, v18
	v_fmamk_f16 v17, v49, 0x3abb, v42
	v_fmac_f16_e32 v47, 0x3abb, v12
	v_fma_f16 v42, v49, 0x3abb, -v42
	v_mul_f16_e32 v44, 0xba0c, v41
	v_pk_mul_f16 v48, 0xb93db08e, v13
	v_add_f16_e32 v17, v17, v39
	v_add_f16_e32 v8, v47, v8
	;; [unrolled: 1-line block ×3, first 2 shown]
	v_fma_f16 v39, v13, 0xb93d, -v44
	v_pk_fma_f16 v42, 0x3bebba0c, v46, v48 op_sel:[0,0,1] op_sel_hi:[1,1,0] neg_lo:[0,1,0] neg_hi:[0,1,0]
	v_pk_fma_f16 v47, 0x3bebba0c, v46, v48 op_sel:[0,0,1] op_sel_hi:[1,1,0]
	v_fmac_f16_e32 v44, 0xb93d, v13
	v_lshrrev_b32_e32 v48, 16, v13
	v_mul_f16_e32 v49, 0x3beb, v46
	v_add_f16_e32 v30, v39, v30
	v_bfi_b32 v39, 0xffff, v47, v42
	v_add_f16_e32 v34, v44, v34
	v_mul_f16_e32 v44, 0xb853, v41
	v_fmamk_f16 v50, v48, 0xb08e, v49
	v_mul_f16_e32 v41, 0xb482, v41
	v_pk_add_f16 v10, v39, v10
	v_fma_f16 v39, v48, 0xb08e, -v49
	v_fma_f16 v49, v13, 0x3abb, -v44
	v_mul_f16_e32 v51, 0xb853, v46
	v_add_f16_e32 v36, v50, v36
	v_add_f16_e32 v25, v25, v35
	;; [unrolled: 1-line block ×4, first 2 shown]
	v_fma_f16 v40, v13, 0xbbad, -v41
	v_pk_add_f16 v49, v15, v16 neg_lo:[0,1] neg_hi:[0,1]
	v_fmamk_f16 v50, v48, 0x3abb, v51
	v_fmac_f16_e32 v41, 0xbbad, v13
	v_pk_add_f16 v15, v16, v15
	v_add_f16_e32 v18, v40, v18
	v_lshrrev_b32_e32 v40, 16, v49
	v_add_f16_e32 v38, v50, v38
	v_mul_f16_e32 v50, 0xb482, v46
	v_add_f16_e32 v35, v41, v8
	v_add_f16_e32 v8, v33, v25
	v_mul_f16_e32 v16, 0xb482, v40
	v_pk_mul_f16 v41, 0xbbad3abb, v15
	v_fma_f16 v25, v48, 0xbbad, -v50
	v_fmac_f16_e32 v44, 0x3abb, v13
	v_add_f16_e32 v43, v43, v8
	v_fma_f16 v33, v15, 0xbbad, -v16
	v_fmac_f16_e32 v16, 0xbbad, v15
	v_add_f16_e32 v21, v25, v21
	v_add_f16_e32 v37, v44, v37
	v_fma_f16 v44, v48, 0x3abb, -v51
	v_add_f16_e32 v25, v33, v30
	v_add_f16_e32 v8, v16, v34
	v_pk_fma_f16 v16, 0x3853b482, v49, v41 op_sel:[0,0,1] op_sel_hi:[1,1,0] neg_lo:[0,1,0] neg_hi:[0,1,0]
	v_pk_fma_f16 v33, 0x3853b482, v49, v41 op_sel:[0,0,1] op_sel_hi:[1,1,0]
	v_fmamk_f16 v51, v48, 0xbbad, v50
	v_add_f16_e32 v30, v42, v43
	v_lshrrev_b32_e32 v34, 16, v15
	v_mul_f16_e32 v42, 0x3853, v49
	v_mul_f16_e32 v48, 0xba0c, v40
	v_bfi_b32 v33, 0xffff, v33, v16
	v_add_f16_e32 v16, v16, v30
	v_pk_mul_f16 v27, 0xbbad, v27 op_sel_hi:[0,1]
	v_fmamk_f16 v30, v34, 0x3abb, v42
	v_fma_f16 v50, v15, 0xb93d, -v48
	v_pk_add_f16 v10, v33, v10
	v_mul_f16_e32 v33, 0xb93d, v34
	v_fmac_f16_e32 v48, 0xb93d, v15
	v_add_f16_e32 v30, v30, v36
	v_add_f16_e32 v36, v50, v39
	v_mul_f16_e32 v39, 0x3b47, v40
	v_fmamk_f16 v40, v49, 0xba0c, v33
	v_mul_f16_e32 v50, 0x3b47, v49
	v_fma_f16 v42, v34, 0x3abb, -v42
	v_add_f16_e32 v37, v48, v37
	v_pk_fma_f16 v48, 0xb482, v26, v27 op_sel:[0,0,1] op_sel_hi:[0,1,0] neg_lo:[0,1,0] neg_hi:[0,1,0]
	v_add_f16_e32 v38, v40, v38
	v_fmamk_f16 v40, v34, 0x36a6, v50
	v_fma_f16 v34, v34, 0x36a6, -v50
	v_pk_mul_f16 v28, 0x3abb, v28 op_sel_hi:[0,1]
	v_pk_fma_f16 v26, 0xb482, v26, v27 op_sel:[0,0,1] op_sel_hi:[0,1,0]
	v_pk_mul_f16 v12, 0xb93d, v12 op_sel_hi:[0,1]
	v_pk_mul_f16 v13, 0x36a6, v13 op_sel_hi:[0,1]
	v_add_f16_e32 v21, v34, v21
	v_alignbit_b32 v34, s0, v48, 16
	v_pk_fma_f16 v27, 0x3853, v9, v28 op_sel:[0,0,1] op_sel_hi:[0,1,0] neg_lo:[0,1,0] neg_hi:[0,1,0]
	v_pk_fma_f16 v9, 0x3853, v9, v28 op_sel:[0,0,1] op_sel_hi:[0,1,0]
	v_pk_fma_f16 v28, 0xba0c, v45, v12 op_sel:[0,0,1] op_sel_hi:[0,1,0] neg_lo:[0,1,0] neg_hi:[0,1,0]
	v_pk_fma_f16 v12, 0xba0c, v45, v12 op_sel:[0,0,1] op_sel_hi:[0,1,0]
	v_pk_add_f16 v34, v19, v34
	v_pk_add_f16 v19, v19, v26 op_sel:[1,0] op_sel_hi:[0,1]
	v_alignbit_b32 v26, s0, v27, 16
	v_add_f16_e32 v17, v51, v17
	v_fma_f16 v51, v15, 0x36a6, -v39
	v_pk_add_f16 v24, v24, v48
	v_pk_add_f16 v9, v9, v19
	;; [unrolled: 1-line block ×3, first 2 shown]
	v_alignbit_b32 v19, s0, v28, 16
	v_pk_fma_f16 v34, 0x3b47, v46, v13 op_sel:[0,0,1] op_sel_hi:[0,1,0] neg_lo:[0,1,0] neg_hi:[0,1,0]
	v_pk_fma_f16 v13, 0x3b47, v46, v13 op_sel:[0,0,1] op_sel_hi:[0,1,0]
	v_pk_add_f16 v9, v12, v9
	v_add_f16_e32 v18, v51, v18
	v_fmac_f16_e32 v39, 0x36a6, v15
	v_add_f16_e32 v17, v40, v17
	v_pk_add_f16 v24, v27, v24
	v_pk_add_f16 v19, v19, v26
	v_alignbit_b32 v12, s0, v34, 16
	v_pk_mul_f16 v15, 0xb08e, v15 op_sel_hi:[0,1]
	v_pk_mul_f16 v43, 0x3853b482, v49
	v_add_f16_e32 v31, v42, v31
	v_mul_f16_e32 v42, 0xba0c, v49
	v_pk_add_f16 v9, v13, v9
	v_lshlrev_b32_e32 v13, 16, v29
	v_pack_b32_f16 v17, v18, v17
	v_pk_add_f16 v18, v28, v24
	v_pk_add_f16 v12, v12, v19
	v_pk_fma_f16 v19, 0xbbeb, v49, v15 op_sel:[0,0,1] op_sel_hi:[0,1,0] neg_lo:[0,1,0] neg_hi:[0,1,0]
	v_alignbit_b32 v30, v30, v10, 16
	v_pack_b32_f16 v10, v25, v10
	v_pack_b32_f16 v24, v44, v41
	v_bfi_b32 v25, 0xffff, v32, v43
	v_pk_add_f16 v26, v33, v42 neg_lo:[0,1] neg_hi:[0,1]
	v_pk_add_f16 v13, v47, v13
	v_pk_fma_f16 v15, 0xbbeb, v49, v15 op_sel:[0,0,1] op_sel_hi:[0,1,0]
	v_pk_add_f16 v18, v34, v18
	v_alignbit_b32 v27, s0, v19, 16
	v_add_f16_e32 v35, v39, v35
	v_pk_add_f16 v24, v24, v25
	v_bfi_b32 v13, 0xffff, v26, v13
	v_pk_add_f16 v9, v15, v9
	v_pk_add_f16 v15, v19, v18
	;; [unrolled: 1-line block ×3, first 2 shown]
	v_pack_b32_f16 v18, v35, v21
	v_pk_add_f16 v13, v13, v24
	v_pack_b32_f16 v19, v36, v38
	v_alignbit_b32 v15, v15, v9, 16
	v_pack_b32_f16 v9, v12, v9
	ds_store_2addr_b32 v20, v11, v18 offset1:7
	v_alignbit_b32 v11, v31, v13, 16
	v_pack_b32_f16 v12, v37, v13
	v_pack_b32_f16 v13, v8, v16
	ds_store_2addr_b32 v20, v10, v30 offset0:1 offset1:2
	ds_store_2addr_b32 v20, v19, v17 offset0:3 offset1:4
	;; [unrolled: 1-line block ×4, first 2 shown]
	ds_store_b32 v20, v13 offset:40
	global_wb scope:SCOPE_SE
	s_wait_dscnt 0x0
	s_barrier_signal -1
	s_barrier_wait -1
	global_inv scope:SCOPE_SE
	ds_load_2addr_b32 v[10:11], v4 offset0:176 offset1:208
	ds_load_2addr_b32 v[18:19], v4 offset0:32 offset1:64
	;; [unrolled: 1-line block ×4, first 2 shown]
	ds_load_b32 v15, v22
	ds_load_b32 v17, v4 offset:1216
	v_cmp_gt_u32_e64 s0, 16, v3
                                        ; implicit-def: $vgpr24
	s_delay_alu instid0(VALU_DEP_1)
	s_and_saveexec_b32 s1, s0
	s_cbranch_execz .LBB0_23
; %bb.22:
	ds_load_2addr_b32 v[8:9], v7 offset0:32 offset1:208
	s_wait_dscnt 0x0
	v_lshrrev_b32_e32 v16, 16, v8
	v_lshrrev_b32_e32 v24, 16, v9
.LBB0_23:
	s_wait_alu 0xfffe
	s_or_b32 exec_lo, exec_lo, s1
	v_and_b32_e32 v7, 0xff, v3
	v_or_b32_e32 v25, 32, v3
	v_and_b32_e32 v27, 0xff, v14
	v_or_b32_e32 v26, 64, v3
	v_or_b32_e32 v28, 0x60, v3
	v_mul_lo_u16 v7, 0x75, v7
	v_or_b32_e32 v29, 0x80, v3
	v_and_b32_e32 v30, 0xff, v25
	v_mul_lo_u16 v27, 0x75, v27
	v_and_b32_e32 v31, 0xff, v26
	v_lshrrev_b16 v7, 8, v7
	v_and_b32_e32 v32, 0xff, v28
	v_and_b32_e32 v33, 0xff, v29
	v_mul_lo_u16 v30, 0x75, v30
	v_lshrrev_b16 v27, 8, v27
	v_sub_nc_u16 v34, v3, v7
	v_mul_lo_u16 v31, 0x75, v31
	v_mul_lo_u16 v32, 0x75, v32
	;; [unrolled: 1-line block ×3, first 2 shown]
	v_lshrrev_b16 v30, 8, v30
	v_lshrrev_b16 v34, 1, v34
	v_sub_nc_u16 v35, v14, v27
	v_lshrrev_b16 v31, 8, v31
	v_lshrrev_b16 v32, 8, v32
	;; [unrolled: 1-line block ×3, first 2 shown]
	v_and_b32_e32 v34, 0x7f, v34
	v_sub_nc_u16 v36, v25, v30
	v_sub_nc_u16 v37, v26, v31
	;; [unrolled: 1-line block ×4, first 2 shown]
	v_add_nc_u16 v7, v34, v7
	v_lshrrev_b16 v34, 1, v35
	v_lshrrev_b16 v35, 1, v36
	;; [unrolled: 1-line block ×5, first 2 shown]
	v_and_b32_e32 v34, 0x7f, v34
	v_and_b32_e32 v35, 0x7f, v35
	v_lshrrev_b16 v7, 3, v7
	v_and_b32_e32 v36, 0x7f, v36
	s_delay_alu instid0(VALU_DEP_4) | instskip(NEXT) | instid1(VALU_DEP_4)
	v_add_nc_u16 v27, v34, v27
	v_add_nc_u16 v30, v35, v30
	v_and_b32_e32 v35, 0x7f, v38
	v_and_b32_e32 v34, 0x7f, v37
	v_mul_lo_u16 v39, v7, 11
	v_lshrrev_b16 v27, 3, v27
	v_lshrrev_b16 v30, 3, v30
	v_add_nc_u16 v33, v35, v33
	v_add_nc_u16 v32, v34, v32
	;; [unrolled: 1-line block ×3, first 2 shown]
	v_mul_lo_u16 v35, v27, 11
	v_mul_lo_u16 v36, v30, 11
	v_lshrrev_b16 v33, 3, v33
	v_lshrrev_b16 v32, 3, v32
	v_sub_nc_u16 v37, v3, v39
	v_sub_nc_u16 v14, v14, v35
	v_lshrrev_b16 v31, 3, v31
	v_sub_nc_u16 v25, v25, v36
	v_mul_lo_u16 v36, v33, 11
	v_mul_lo_u16 v35, v32, 11
	v_and_b32_e32 v34, 0xff, v37
	v_and_b32_e32 v14, 0xff, v14
	v_mul_lo_u16 v37, v31, 11
	v_sub_nc_u16 v29, v29, v36
	v_sub_nc_u16 v35, v28, v35
	v_and_b32_e32 v25, 0xff, v25
	v_lshlrev_b32_e32 v28, 2, v14
	v_sub_nc_u16 v14, v26, v37
	v_lshlrev_b32_e32 v26, 2, v34
	v_and_b32_e32 v29, 0xff, v29
	v_and_b32_e32 v34, 0xff, v35
	global_load_b32 v35, v28, s[8:9]
	v_and_b32_e32 v14, 0xff, v14
	global_load_b32 v36, v26, s[8:9]
	v_lshlrev_b32_e32 v29, 2, v29
	v_lshlrev_b32_e32 v34, 2, v34
	;; [unrolled: 1-line block ×4, first 2 shown]
	s_clause 0x3
	global_load_b32 v37, v29, s[8:9]
	global_load_b32 v38, v34, s[8:9]
	;; [unrolled: 1-line block ×4, first 2 shown]
	v_and_b32_e32 v7, 0xffff, v7
	v_and_b32_e32 v31, 0xffff, v31
	;; [unrolled: 1-line block ×5, first 2 shown]
	v_mad_u32_u24 v7, 0x58, v7, 0
	v_mad_u32_u24 v31, 0x58, v31, 0
	;; [unrolled: 1-line block ×5, first 2 shown]
	v_add3_u32 v41, v7, v26, v23
	v_add3_u32 v31, v31, v14, v23
	;; [unrolled: 1-line block ×5, first 2 shown]
	global_wb scope:SCOPE_SE
	s_wait_loadcnt_dscnt 0x0
	s_barrier_signal -1
	s_barrier_wait -1
	global_inv scope:SCOPE_SE
	v_lshrrev_b32_e32 v7, 16, v35
	v_pk_mul_f16 v14, v36, v10 op_sel:[0,1]
	s_delay_alu instid0(VALU_DEP_2) | instskip(SKIP_1) | instid1(VALU_DEP_3)
	v_mul_f16_e32 v25, v24, v7
	v_mul_f16_e32 v7, v9, v7
	v_pk_fma_f16 v26, v36, v10, v14 op_sel:[0,0,1] op_sel_hi:[1,0,0]
	v_pk_fma_f16 v10, v36, v10, v14 op_sel:[0,0,1] op_sel_hi:[1,0,0] neg_lo:[0,0,1] neg_hi:[0,0,1]
	v_pk_mul_f16 v14, v37, v17 op_sel:[0,1]
	v_pk_mul_f16 v33, v38, v13 op_sel:[0,1]
	;; [unrolled: 1-line block ×4, first 2 shown]
	v_fmac_f16_e32 v7, v24, v35
	v_bfi_b32 v10, 0xffff, v10, v26
	v_pk_fma_f16 v24, v37, v17, v14 op_sel:[0,0,1] op_sel_hi:[1,0,0]
	v_pk_fma_f16 v14, v37, v17, v14 op_sel:[0,0,1] op_sel_hi:[1,0,0] neg_lo:[0,0,1] neg_hi:[0,0,1]
	v_pk_fma_f16 v17, v38, v13, v33 op_sel:[0,0,1] op_sel_hi:[1,1,0] neg_lo:[0,0,1] neg_hi:[0,0,1]
	v_pk_fma_f16 v26, v38, v13, v33 op_sel:[0,0,1] op_sel_hi:[1,0,0]
	v_pk_fma_f16 v33, v39, v12, v34 op_sel:[0,0,1] op_sel_hi:[1,1,0] neg_lo:[0,0,1] neg_hi:[0,0,1]
	v_pk_fma_f16 v12, v39, v12, v34 op_sel:[0,0,1] op_sel_hi:[1,0,0]
	;; [unrolled: 2-line block ×3, first 2 shown]
	v_fma_f16 v9, v9, v35, -v25
	v_pk_add_f16 v13, v15, v10 neg_lo:[0,1] neg_hi:[0,1]
	v_bfi_b32 v10, 0xffff, v14, v24
	v_bfi_b32 v12, 0xffff, v33, v12
	;; [unrolled: 1-line block ×4, first 2 shown]
	v_sub_f16_e32 v9, v8, v9
	v_sub_f16_e32 v25, v16, v7
	v_pk_fma_f16 v24, v15, 2.0, v13 op_sel_hi:[1,0,1] neg_lo:[0,0,1] neg_hi:[0,0,1]
	v_pk_add_f16 v7, v21, v10 neg_lo:[0,1] neg_hi:[0,1]
	v_pk_add_f16 v11, v18, v11 neg_lo:[0,1] neg_hi:[0,1]
	;; [unrolled: 1-line block ×4, first 2 shown]
	v_fma_f16 v8, v8, 2.0, -v9
	v_fma_f16 v26, v16, 2.0, -v25
	v_pk_fma_f16 v14, v18, 2.0, v11 op_sel_hi:[1,0,1] neg_lo:[0,0,1] neg_hi:[0,0,1]
	v_pk_fma_f16 v12, v19, 2.0, v15 op_sel_hi:[1,0,1] neg_lo:[0,0,1] neg_hi:[0,0,1]
	;; [unrolled: 1-line block ×4, first 2 shown]
	ds_store_2addr_b32 v41, v24, v13 offset1:11
	ds_store_2addr_b32 v30, v14, v11 offset1:11
	;; [unrolled: 1-line block ×5, first 2 shown]
	s_and_saveexec_b32 s1, s0
	s_cbranch_execz .LBB0_25
; %bb.24:
	v_and_b32_e32 v10, 0xffff, v27
	v_perm_b32 v19, v26, v8, 0x5040100
	v_perm_b32 v20, v25, v9, 0x5040100
	s_delay_alu instid0(VALU_DEP_3) | instskip(NEXT) | instid1(VALU_DEP_1)
	v_mad_u32_u24 v10, 0x58, v10, 0
	v_add3_u32 v10, v10, v28, v23
	ds_store_2addr_b32 v10, v19, v20 offset1:11
.LBB0_25:
	s_wait_alu 0xfffe
	s_or_b32 exec_lo, exec_lo, s1
	v_cmp_gt_u32_e64 s0, 22, v3
	v_lshrrev_b32_e32 v21, 16, v13
	v_lshrrev_b32_e32 v32, 16, v16
	;; [unrolled: 1-line block ×7, first 2 shown]
	global_wb scope:SCOPE_SE
	s_wait_dscnt 0x0
	s_barrier_signal -1
	s_barrier_wait -1
	global_inv scope:SCOPE_SE
                                        ; implicit-def: $vgpr35
                                        ; implicit-def: $vgpr34
                                        ; implicit-def: $vgpr19
                                        ; implicit-def: $vgpr36
                                        ; implicit-def: $vgpr28
                                        ; implicit-def: $vgpr23
	s_and_saveexec_b32 s1, s0
	s_cbranch_execz .LBB0_27
; %bb.26:
	v_add_nc_u32_e32 v9, 0x200, v4
	v_add_nc_u32_e32 v17, 0x400, v4
	ds_load_2addr_b32 v[7:8], v4 offset0:198 offset1:220
	ds_load_b32 v23, v4 offset:1320
	ds_load_2addr_b32 v[13:14], v4 offset0:22 offset1:44
	ds_load_2addr_b32 v[11:12], v4 offset0:66 offset1:88
	;; [unrolled: 1-line block ×6, first 2 shown]
	ds_load_b32 v24, v22
	s_wait_dscnt 0x8
	v_lshrrev_b32_e32 v26, 16, v8
	s_wait_dscnt 0x7
	v_lshrrev_b32_e32 v28, 16, v23
	;; [unrolled: 2-line block ×3, first 2 shown]
	v_lshrrev_b32_e32 v29, 16, v14
	s_wait_dscnt 0x5
	v_lshrrev_b32_e32 v27, 16, v11
	v_lshrrev_b32_e32 v33, 16, v12
	s_wait_dscnt 0x4
	v_lshrrev_b32_e32 v30, 16, v15
	;; [unrolled: 3-line block ×5, first 2 shown]
.LBB0_27:
	s_wait_alu 0xfffe
	s_or_b32 exec_lo, exec_lo, s1
	global_wb scope:SCOPE_SE
	s_wait_dscnt 0x0
	s_barrier_signal -1
	s_barrier_wait -1
	global_inv scope:SCOPE_SE
	s_and_saveexec_b32 s1, s0
	s_cbranch_execz .LBB0_29
; %bb.28:
	v_subrev_nc_u32_e32 v37, 22, v3
	v_dual_mov_b32 v38, 0 :: v_dual_add_nc_u32 v55, 0x200, v4
	v_lshrrev_b32_e32 v52, 16, v18
	v_lshrrev_b32_e32 v53, 16, v7
	s_delay_alu instid0(VALU_DEP_4) | instskip(SKIP_2) | instid1(VALU_DEP_3)
	v_cndmask_b32_e64 v37, v37, v3, s0
	v_lshrrev_b32_e32 v54, 16, v24
	v_add_nc_u32_e32 v56, 0x400, v4
	v_mul_i32_i24_e32 v37, 15, v37
	s_delay_alu instid0(VALU_DEP_1) | instskip(NEXT) | instid1(VALU_DEP_1)
	v_lshlrev_b64_e32 v[37:38], 2, v[37:38]
	v_add_co_u32 v49, s0, s8, v37
	s_wait_alu 0xf1ff
	s_delay_alu instid0(VALU_DEP_2)
	v_add_co_ci_u32_e64 v50, s0, s9, v38, s0
	s_clause 0x3
	global_load_b128 v[37:40], v[49:50], off offset:44
	global_load_b128 v[41:44], v[49:50], off offset:60
	;; [unrolled: 1-line block ×3, first 2 shown]
	global_load_b96 v[49:51], v[49:50], off offset:92
	s_wait_loadcnt 0x3
	v_lshrrev_b32_e32 v57, 16, v37
	v_lshrrev_b32_e32 v58, 16, v38
	v_lshrrev_b32_e32 v59, 16, v39
	v_lshrrev_b32_e32 v60, 16, v40
	s_wait_loadcnt 0x2
	v_lshrrev_b32_e32 v61, 16, v41
	v_lshrrev_b32_e32 v62, 16, v42
	v_lshrrev_b32_e32 v63, 16, v43
	v_lshrrev_b32_e32 v64, 16, v44
	s_wait_loadcnt 0x1
	v_lshrrev_b32_e32 v65, 16, v45
	v_lshrrev_b32_e32 v66, 16, v46
	v_lshrrev_b32_e32 v67, 16, v47
	v_lshrrev_b32_e32 v68, 16, v48
	s_wait_loadcnt 0x0
	v_lshrrev_b32_e32 v69, 16, v49
	v_lshrrev_b32_e32 v70, 16, v50
	;; [unrolled: 1-line block ×3, first 2 shown]
	v_mul_f16_e32 v72, v52, v64
	v_mul_f16_e32 v73, v12, v60
	;; [unrolled: 1-line block ×30, first 2 shown]
	v_fma_f16 v18, v18, v44, -v72
	v_fmac_f16_e32 v73, v33, v40
	v_fmac_f16_e32 v74, v35, v48
	v_fma_f16 v14, v14, v38, -v75
	v_fma_f16 v8, v8, v46, -v76
	v_fmac_f16_e32 v77, v32, v42
	v_fmac_f16_e32 v78, v36, v50
	;; [unrolled: 1-line block ×4, first 2 shown]
	v_fma_f16 v16, v16, v42, -v62
	v_fma_f16 v20, v20, v50, -v70
	v_fma_f16 v13, v13, v37, -v79
	v_fma_f16 v7, v7, v45, -v80
	v_fmac_f16_e32 v81, v30, v41
	v_fmac_f16_e32 v82, v34, v49
	v_fma_f16 v11, v11, v39, -v83
	v_fma_f16 v9, v9, v47, -v84
	v_fmac_f16_e32 v85, v31, v43
	v_fmac_f16_e32 v86, v28, v51
	;; [unrolled: 1-line block ×4, first 2 shown]
	v_fma_f16 v17, v17, v43, -v63
	v_fma_f16 v23, v23, v51, -v71
	v_fmac_f16_e32 v57, v21, v37
	v_fmac_f16_e32 v65, v53, v45
	v_fma_f16 v15, v15, v41, -v61
	v_fma_f16 v19, v19, v49, -v69
	v_fmac_f16_e32 v64, v52, v44
	v_fma_f16 v12, v12, v40, -v60
	v_fma_f16 v10, v10, v48, -v68
	v_sub_f16_e32 v18, v24, v18
	v_sub_f16_e32 v21, v73, v74
	;; [unrolled: 1-line block ×18, first 2 shown]
	v_add_f16_e32 v34, v26, v20
	v_sub_f16_e32 v35, v7, v27
	v_sub_f16_e32 v36, v9, v28
	v_add_f16_e32 v37, v29, v23
	v_add_f16_e32 v38, v30, v19
	;; [unrolled: 1-line block ×3, first 2 shown]
	v_fma_f16 v40, v57, 2.0, -v30
	v_fma_f16 v27, v81, 2.0, -v27
	;; [unrolled: 1-line block ×16, first 2 shown]
	v_fmamk_f16 v20, v33, 0x39a8, v32
	v_fmamk_f16 v41, v36, 0x39a8, v35
	v_fmamk_f16 v42, v37, 0x39a8, v38
	v_fmamk_f16 v43, v34, 0x39a8, v39
	v_fma_f16 v18, v18, 2.0, -v32
	v_fma_f16 v8, v8, 2.0, -v33
	;; [unrolled: 1-line block ×8, first 2 shown]
	v_sub_f16_e32 v27, v40, v27
	v_sub_f16_e32 v17, v11, v17
	;; [unrolled: 1-line block ×8, first 2 shown]
	v_fmac_f16_e32 v20, 0xb9a8, v34
	v_fmac_f16_e32 v41, 0xb9a8, v37
	;; [unrolled: 1-line block ×4, first 2 shown]
	v_fmamk_f16 v33, v8, 0xb9a8, v18
	v_fmamk_f16 v34, v9, 0xb9a8, v7
	;; [unrolled: 1-line block ×4, first 2 shown]
	v_add_f16_e32 v46, v27, v17
	v_add_f16_e32 v47, v21, v16
	v_sub_f16_e32 v44, v10, v25
	v_sub_f16_e32 v45, v15, v28
	v_fma_f16 v24, v24, 2.0, -v10
	v_fma_f16 v14, v14, 2.0, -v16
	;; [unrolled: 1-line block ×8, first 2 shown]
	v_fmac_f16_e32 v33, 0xb9a8, v26
	v_fmac_f16_e32 v34, 0xb9a8, v29
	;; [unrolled: 1-line block ×4, first 2 shown]
	v_fmamk_f16 v8, v41, 0x3b64, v20
	v_fma_f16 v27, v27, 2.0, -v46
	v_fma_f16 v21, v21, 2.0, -v47
	;; [unrolled: 1-line block ×6, first 2 shown]
	v_fmamk_f16 v26, v45, 0x39a8, v44
	v_sub_f16_e32 v14, v24, v14
	v_sub_f16_e32 v19, v16, v19
	;; [unrolled: 1-line block ×4, first 2 shown]
	v_fmamk_f16 v9, v42, 0x3b64, v43
	v_fmamk_f16 v29, v46, 0x39a8, v47
	v_fma_f16 v10, v10, 2.0, -v44
	v_fma_f16 v15, v15, 2.0, -v45
	v_fmac_f16_e32 v8, 0xb61f, v42
	v_fmamk_f16 v42, v27, 0xb9a8, v21
	v_fma_f16 v18, v18, 2.0, -v33
	v_fma_f16 v7, v7, 2.0, -v34
	;; [unrolled: 1-line block ×4, first 2 shown]
	v_fmamk_f16 v35, v25, 0xb61f, v17
	v_fmamk_f16 v38, v28, 0xb61f, v32
	v_fmac_f16_e32 v26, 0xb9a8, v46
	v_add_f16_e32 v46, v12, v11
	v_fma_f16 v24, v24, 2.0, -v14
	v_fma_f16 v11, v13, 2.0, -v11
	;; [unrolled: 1-line block ×4, first 2 shown]
	v_fmamk_f16 v39, v34, 0x361f, v33
	v_fmamk_f16 v40, v36, 0x361f, v37
	v_fmac_f16_e32 v9, 0x361f, v41
	v_fmac_f16_e32 v29, 0x39a8, v45
	v_fmamk_f16 v41, v15, 0xb9a8, v10
	v_sub_f16_e32 v45, v14, v19
	v_fmac_f16_e32 v42, 0x39a8, v15
	v_fmamk_f16 v15, v7, 0xbb64, v18
	v_fmamk_f16 v23, v30, 0xbb64, v31
	v_fmac_f16_e32 v35, 0xbb64, v28
	v_fmac_f16_e32 v38, 0x3b64, v25
	v_sub_f16_e32 v11, v24, v11
	v_sub_f16_e32 v16, v13, v16
	v_fmac_f16_e32 v39, 0xbb64, v36
	v_fmac_f16_e32 v40, 0x3b64, v34
	v_fma_f16 v19, v20, 2.0, -v8
	v_fma_f16 v20, v43, 2.0, -v9
	v_fmac_f16_e32 v41, 0xb9a8, v27
	v_fma_f16 v14, v14, 2.0, -v45
	v_fma_f16 v12, v12, 2.0, -v46
	;; [unrolled: 1-line block ×4, first 2 shown]
	v_fmac_f16_e32 v15, 0xb61f, v30
	v_fmac_f16_e32 v23, 0x361f, v7
	v_fma_f16 v17, v17, 2.0, -v35
	v_fma_f16 v32, v32, 2.0, -v38
	;; [unrolled: 1-line block ×4, first 2 shown]
	v_pack_b32_f16 v26, v26, v29
	v_pack_b32_f16 v8, v8, v9
	v_fma_f16 v9, v33, 2.0, -v39
	v_fma_f16 v29, v37, 2.0, -v40
	v_pack_b32_f16 v19, v19, v20
	v_pack_b32_f16 v11, v11, v16
	v_fma_f16 v10, v10, 2.0, -v41
	v_fma_f16 v21, v21, 2.0, -v42
	;; [unrolled: 4-line block ×3, first 2 shown]
	v_pack_b32_f16 v28, v45, v46
	v_pack_b32_f16 v20, v35, v38
	;; [unrolled: 1-line block ×7, first 2 shown]
	ds_store_2addr_b32 v4, v19, v11 offset0:154 offset1:176
	v_pack_b32_f16 v11, v15, v23
	v_pack_b32_f16 v10, v10, v21
	;; [unrolled: 1-line block ×3, first 2 shown]
	ds_store_2addr_b32 v55, v20, v28 offset0:114 offset1:136
	ds_store_2addr_b32 v56, v24, v26 offset0:30 offset1:52
	;; [unrolled: 1-line block ×6, first 2 shown]
	ds_store_b32 v22, v7
	ds_store_b32 v4, v8 offset:1320
.LBB0_29:
	s_wait_alu 0xfffe
	s_or_b32 exec_lo, exec_lo, s1
	global_wb scope:SCOPE_SE
	s_wait_dscnt 0x0
	s_barrier_signal -1
	s_barrier_wait -1
	global_inv scope:SCOPE_SE
	s_and_saveexec_b32 s0, vcc_lo
	s_cbranch_execz .LBB0_31
; %bb.30:
	v_mul_lo_u32 v7, s3, v5
	v_mul_lo_u32 v8, s2, v6
	v_mad_co_u64_u32 v[5:6], null, s2, v5, 0
	v_mov_b32_e32 v4, 0
	v_lshl_add_u32 v33, v3, 2, v0
	v_lshlrev_b64_e32 v[0:1], 2, v[1:2]
	v_add_nc_u32_e32 v21, 0xc0, v3
	v_add_nc_u32_e32 v25, 0xe0, v3
	;; [unrolled: 1-line block ×3, first 2 shown]
	v_add3_u32 v6, v6, v8, v7
	v_add_nc_u32_e32 v7, 32, v3
	v_dual_mov_b32 v8, v4 :: v_dual_add_nc_u32 v9, 64, v3
	v_lshlrev_b64_e32 v[15:16], 2, v[3:4]
	s_delay_alu instid0(VALU_DEP_4)
	v_lshlrev_b64_e32 v[5:6], 2, v[5:6]
	v_dual_mov_b32 v10, v4 :: v_dual_add_nc_u32 v11, 0x60, v3
	v_mov_b32_e32 v12, v4
	v_mov_b32_e32 v18, v4
	;; [unrolled: 1-line block ×3, first 2 shown]
	v_add_co_u32 v2, vcc_lo, s6, v5
	s_wait_alu 0xfffd
	v_add_co_ci_u32_e32 v5, vcc_lo, s7, v6, vcc_lo
	v_mov_b32_e32 v26, v4
	s_delay_alu instid0(VALU_DEP_3) | instskip(SKIP_1) | instid1(VALU_DEP_3)
	v_add_co_u32 v34, vcc_lo, v2, v0
	s_wait_alu 0xfffd
	v_add_co_ci_u32_e32 v35, vcc_lo, v5, v1, vcc_lo
	v_lshlrev_b64_e32 v[0:1], 2, v[7:8]
	s_delay_alu instid0(VALU_DEP_3)
	v_add_co_u32 v5, vcc_lo, v34, v15
	v_lshlrev_b64_e32 v[7:8], 2, v[9:10]
	s_wait_alu 0xfffd
	v_add_co_ci_u32_e32 v6, vcc_lo, v35, v16, vcc_lo
	v_dual_mov_b32 v16, v4 :: v_dual_add_nc_u32 v15, 0x80, v3
	v_add_nc_u32_e32 v17, 0xa0, v3
	v_add_co_u32 v0, vcc_lo, v34, v0
	v_lshlrev_b64_e32 v[11:12], 2, v[11:12]
	s_wait_alu 0xfffd
	v_add_co_ci_u32_e32 v1, vcc_lo, v35, v1, vcc_lo
	v_add_co_u32 v7, vcc_lo, v34, v7
	v_lshlrev_b64_e32 v[15:16], 2, v[15:16]
	s_wait_alu 0xfffd
	v_add_co_ci_u32_e32 v8, vcc_lo, v35, v8, vcc_lo
	;; [unrolled: 4-line block ×3, first 2 shown]
	ds_load_2addr_b32 v[13:14], v33 offset1:32
	v_add_co_u32 v15, vcc_lo, v34, v15
	v_lshlrev_b64_e32 v[21:22], 2, v[21:22]
	v_dual_mov_b32 v28, v4 :: v_dual_add_nc_u32 v29, 0x120, v3
	ds_load_2addr_b32 v[9:10], v33 offset0:64 offset1:96
	s_wait_alu 0xfffd
	v_add_co_ci_u32_e32 v16, vcc_lo, v35, v16, vcc_lo
	v_add_co_u32 v17, vcc_lo, v34, v17
	v_lshlrev_b64_e32 v[25:26], 2, v[25:26]
	v_add_nc_u32_e32 v2, 0x400, v33
	ds_load_2addr_b32 v[19:20], v33 offset0:128 offset1:160
	v_dual_mov_b32 v30, v4 :: v_dual_add_nc_u32 v3, 0x140, v3
	s_wait_alu 0xfffd
	v_add_co_ci_u32_e32 v18, vcc_lo, v35, v18, vcc_lo
	ds_load_2addr_b32 v[23:24], v33 offset0:192 offset1:224
	v_add_co_u32 v21, vcc_lo, v34, v21
	v_lshlrev_b64_e32 v[27:28], 2, v[27:28]
	s_wait_alu 0xfffd
	v_add_co_ci_u32_e32 v22, vcc_lo, v35, v22, vcc_lo
	ds_load_2addr_b32 v[31:32], v2 offset1:32
	v_add_co_u32 v25, vcc_lo, v34, v25
	v_lshlrev_b64_e32 v[29:30], 2, v[29:30]
	ds_load_b32 v33, v33 offset:1280
	s_wait_alu 0xfffd
	v_add_co_ci_u32_e32 v26, vcc_lo, v35, v26, vcc_lo
	v_add_co_u32 v27, vcc_lo, v34, v27
	v_lshlrev_b64_e32 v[2:3], 2, v[3:4]
	s_wait_alu 0xfffd
	v_add_co_ci_u32_e32 v28, vcc_lo, v35, v28, vcc_lo
	v_add_co_u32 v29, vcc_lo, v34, v29
	s_wait_alu 0xfffd
	v_add_co_ci_u32_e32 v30, vcc_lo, v35, v30, vcc_lo
	v_add_co_u32 v2, vcc_lo, v34, v2
	s_wait_alu 0xfffd
	v_add_co_ci_u32_e32 v3, vcc_lo, v35, v3, vcc_lo
	s_wait_dscnt 0x5
	s_clause 0x1
	global_store_b32 v[5:6], v13, off
	global_store_b32 v[0:1], v14, off
	s_wait_dscnt 0x4
	s_clause 0x1
	global_store_b32 v[7:8], v9, off
	global_store_b32 v[11:12], v10, off
	;; [unrolled: 4-line block ×5, first 2 shown]
	s_wait_dscnt 0x0
	global_store_b32 v[2:3], v33, off
.LBB0_31:
	s_nop 0
	s_sendmsg sendmsg(MSG_DEALLOC_VGPRS)
	s_endpgm
	.section	.rodata,"a",@progbits
	.p2align	6, 0x0
	.amdhsa_kernel fft_rtc_fwd_len352_factors_11_2_16_wgs_64_tpt_32_half_op_CI_CI_unitstride_sbrr_C2R_dirReg
		.amdhsa_group_segment_fixed_size 0
		.amdhsa_private_segment_fixed_size 0
		.amdhsa_kernarg_size 104
		.amdhsa_user_sgpr_count 2
		.amdhsa_user_sgpr_dispatch_ptr 0
		.amdhsa_user_sgpr_queue_ptr 0
		.amdhsa_user_sgpr_kernarg_segment_ptr 1
		.amdhsa_user_sgpr_dispatch_id 0
		.amdhsa_user_sgpr_private_segment_size 0
		.amdhsa_wavefront_size32 1
		.amdhsa_uses_dynamic_stack 0
		.amdhsa_enable_private_segment 0
		.amdhsa_system_sgpr_workgroup_id_x 1
		.amdhsa_system_sgpr_workgroup_id_y 0
		.amdhsa_system_sgpr_workgroup_id_z 0
		.amdhsa_system_sgpr_workgroup_info 0
		.amdhsa_system_vgpr_workitem_id 0
		.amdhsa_next_free_vgpr 87
		.amdhsa_next_free_sgpr 39
		.amdhsa_reserve_vcc 1
		.amdhsa_float_round_mode_32 0
		.amdhsa_float_round_mode_16_64 0
		.amdhsa_float_denorm_mode_32 3
		.amdhsa_float_denorm_mode_16_64 3
		.amdhsa_fp16_overflow 0
		.amdhsa_workgroup_processor_mode 1
		.amdhsa_memory_ordered 1
		.amdhsa_forward_progress 0
		.amdhsa_round_robin_scheduling 0
		.amdhsa_exception_fp_ieee_invalid_op 0
		.amdhsa_exception_fp_denorm_src 0
		.amdhsa_exception_fp_ieee_div_zero 0
		.amdhsa_exception_fp_ieee_overflow 0
		.amdhsa_exception_fp_ieee_underflow 0
		.amdhsa_exception_fp_ieee_inexact 0
		.amdhsa_exception_int_div_zero 0
	.end_amdhsa_kernel
	.text
.Lfunc_end0:
	.size	fft_rtc_fwd_len352_factors_11_2_16_wgs_64_tpt_32_half_op_CI_CI_unitstride_sbrr_C2R_dirReg, .Lfunc_end0-fft_rtc_fwd_len352_factors_11_2_16_wgs_64_tpt_32_half_op_CI_CI_unitstride_sbrr_C2R_dirReg
                                        ; -- End function
	.section	.AMDGPU.csdata,"",@progbits
; Kernel info:
; codeLenInByte = 9592
; NumSgprs: 41
; NumVgprs: 87
; ScratchSize: 0
; MemoryBound: 0
; FloatMode: 240
; IeeeMode: 1
; LDSByteSize: 0 bytes/workgroup (compile time only)
; SGPRBlocks: 5
; VGPRBlocks: 10
; NumSGPRsForWavesPerEU: 41
; NumVGPRsForWavesPerEU: 87
; Occupancy: 16
; WaveLimiterHint : 1
; COMPUTE_PGM_RSRC2:SCRATCH_EN: 0
; COMPUTE_PGM_RSRC2:USER_SGPR: 2
; COMPUTE_PGM_RSRC2:TRAP_HANDLER: 0
; COMPUTE_PGM_RSRC2:TGID_X_EN: 1
; COMPUTE_PGM_RSRC2:TGID_Y_EN: 0
; COMPUTE_PGM_RSRC2:TGID_Z_EN: 0
; COMPUTE_PGM_RSRC2:TIDIG_COMP_CNT: 0
	.text
	.p2alignl 7, 3214868480
	.fill 96, 4, 3214868480
	.type	__hip_cuid_e037624467dccdfa,@object ; @__hip_cuid_e037624467dccdfa
	.section	.bss,"aw",@nobits
	.globl	__hip_cuid_e037624467dccdfa
__hip_cuid_e037624467dccdfa:
	.byte	0                               ; 0x0
	.size	__hip_cuid_e037624467dccdfa, 1

	.ident	"AMD clang version 19.0.0git (https://github.com/RadeonOpenCompute/llvm-project roc-6.4.0 25133 c7fe45cf4b819c5991fe208aaa96edf142730f1d)"
	.section	".note.GNU-stack","",@progbits
	.addrsig
	.addrsig_sym __hip_cuid_e037624467dccdfa
	.amdgpu_metadata
---
amdhsa.kernels:
  - .args:
      - .actual_access:  read_only
        .address_space:  global
        .offset:         0
        .size:           8
        .value_kind:     global_buffer
      - .offset:         8
        .size:           8
        .value_kind:     by_value
      - .actual_access:  read_only
        .address_space:  global
        .offset:         16
        .size:           8
        .value_kind:     global_buffer
      - .actual_access:  read_only
        .address_space:  global
        .offset:         24
        .size:           8
        .value_kind:     global_buffer
      - .actual_access:  read_only
        .address_space:  global
        .offset:         32
        .size:           8
        .value_kind:     global_buffer
      - .offset:         40
        .size:           8
        .value_kind:     by_value
      - .actual_access:  read_only
        .address_space:  global
        .offset:         48
        .size:           8
        .value_kind:     global_buffer
      - .actual_access:  read_only
        .address_space:  global
        .offset:         56
        .size:           8
        .value_kind:     global_buffer
      - .offset:         64
        .size:           4
        .value_kind:     by_value
      - .actual_access:  read_only
        .address_space:  global
        .offset:         72
        .size:           8
        .value_kind:     global_buffer
      - .actual_access:  read_only
        .address_space:  global
        .offset:         80
        .size:           8
        .value_kind:     global_buffer
      - .actual_access:  read_only
        .address_space:  global
        .offset:         88
        .size:           8
        .value_kind:     global_buffer
      - .actual_access:  write_only
        .address_space:  global
        .offset:         96
        .size:           8
        .value_kind:     global_buffer
    .group_segment_fixed_size: 0
    .kernarg_segment_align: 8
    .kernarg_segment_size: 104
    .language:       OpenCL C
    .language_version:
      - 2
      - 0
    .max_flat_workgroup_size: 64
    .name:           fft_rtc_fwd_len352_factors_11_2_16_wgs_64_tpt_32_half_op_CI_CI_unitstride_sbrr_C2R_dirReg
    .private_segment_fixed_size: 0
    .sgpr_count:     41
    .sgpr_spill_count: 0
    .symbol:         fft_rtc_fwd_len352_factors_11_2_16_wgs_64_tpt_32_half_op_CI_CI_unitstride_sbrr_C2R_dirReg.kd
    .uniform_work_group_size: 1
    .uses_dynamic_stack: false
    .vgpr_count:     87
    .vgpr_spill_count: 0
    .wavefront_size: 32
    .workgroup_processor_mode: 1
amdhsa.target:   amdgcn-amd-amdhsa--gfx1201
amdhsa.version:
  - 1
  - 2
...

	.end_amdgpu_metadata
